;; amdgpu-corpus repo=ROCm/rocFFT kind=compiled arch=gfx906 opt=O3
	.text
	.amdgcn_target "amdgcn-amd-amdhsa--gfx906"
	.amdhsa_code_object_version 6
	.protected	fft_rtc_fwd_len1078_factors_2_11_7_7_wgs_231_tpt_77_halfLds_half_op_CI_CI_unitstride_sbrr_dirReg ; -- Begin function fft_rtc_fwd_len1078_factors_2_11_7_7_wgs_231_tpt_77_halfLds_half_op_CI_CI_unitstride_sbrr_dirReg
	.globl	fft_rtc_fwd_len1078_factors_2_11_7_7_wgs_231_tpt_77_halfLds_half_op_CI_CI_unitstride_sbrr_dirReg
	.p2align	8
	.type	fft_rtc_fwd_len1078_factors_2_11_7_7_wgs_231_tpt_77_halfLds_half_op_CI_CI_unitstride_sbrr_dirReg,@function
fft_rtc_fwd_len1078_factors_2_11_7_7_wgs_231_tpt_77_halfLds_half_op_CI_CI_unitstride_sbrr_dirReg: ; @fft_rtc_fwd_len1078_factors_2_11_7_7_wgs_231_tpt_77_halfLds_half_op_CI_CI_unitstride_sbrr_dirReg
; %bb.0:
	v_mul_u32_u24_e32 v1, 0x354, v0
	s_load_dwordx4 s[8:11], s[4:5], 0x58
	s_load_dwordx4 s[12:15], s[4:5], 0x0
	;; [unrolled: 1-line block ×3, first 2 shown]
	v_lshrrev_b32_e32 v1, 16, v1
	v_mad_u64_u32 v[5:6], s[0:1], s6, 3, v[1:2]
	v_mov_b32_e32 v9, 0
	s_waitcnt lgkmcnt(0)
	v_cmp_lt_u64_e64 s[0:1], s[14:15], 2
	v_mov_b32_e32 v7, 0
	v_mov_b32_e32 v6, v9
	;; [unrolled: 1-line block ×5, first 2 shown]
	s_and_b64 vcc, exec, s[0:1]
	v_mov_b32_e32 v2, v8
	v_mov_b32_e32 v4, v6
	s_cbranch_vccnz .LBB0_8
; %bb.1:
	s_load_dwordx2 s[0:1], s[4:5], 0x10
	s_add_u32 s2, s18, 8
	s_addc_u32 s3, s19, 0
	s_add_u32 s6, s16, 8
	s_addc_u32 s7, s17, 0
	v_mov_b32_e32 v7, 0
	s_waitcnt lgkmcnt(0)
	s_add_u32 s20, s0, 8
	v_mov_b32_e32 v8, 0
	v_mov_b32_e32 v1, v7
	;; [unrolled: 1-line block ×3, first 2 shown]
	s_addc_u32 s21, s1, 0
	s_mov_b64 s[22:23], 1
	v_mov_b32_e32 v2, v8
	v_mov_b32_e32 v11, v5
.LBB0_2:                                ; =>This Inner Loop Header: Depth=1
	s_load_dwordx2 s[24:25], s[20:21], 0x0
                                        ; implicit-def: $vgpr3_vgpr4
	s_waitcnt lgkmcnt(0)
	v_or_b32_e32 v10, s25, v12
	v_cmp_ne_u64_e32 vcc, 0, v[9:10]
	s_and_saveexec_b64 s[0:1], vcc
	s_xor_b64 s[26:27], exec, s[0:1]
	s_cbranch_execz .LBB0_4
; %bb.3:                                ;   in Loop: Header=BB0_2 Depth=1
	v_cvt_f32_u32_e32 v3, s24
	v_cvt_f32_u32_e32 v4, s25
	s_sub_u32 s0, 0, s24
	s_subb_u32 s1, 0, s25
	v_mac_f32_e32 v3, 0x4f800000, v4
	v_rcp_f32_e32 v3, v3
	v_mul_f32_e32 v3, 0x5f7ffffc, v3
	v_mul_f32_e32 v4, 0x2f800000, v3
	v_trunc_f32_e32 v4, v4
	v_mac_f32_e32 v3, 0xcf800000, v4
	v_cvt_u32_f32_e32 v4, v4
	v_cvt_u32_f32_e32 v3, v3
	v_mul_lo_u32 v6, s0, v4
	v_mul_hi_u32 v10, s0, v3
	v_mul_lo_u32 v14, s1, v3
	v_mul_lo_u32 v13, s0, v3
	v_add_u32_e32 v6, v10, v6
	v_add_u32_e32 v6, v6, v14
	v_mul_hi_u32 v10, v3, v13
	v_mul_lo_u32 v14, v3, v6
	v_mul_hi_u32 v16, v3, v6
	v_mul_hi_u32 v15, v4, v13
	v_mul_lo_u32 v13, v4, v13
	v_mul_hi_u32 v17, v4, v6
	v_add_co_u32_e32 v10, vcc, v10, v14
	v_addc_co_u32_e32 v14, vcc, 0, v16, vcc
	v_mul_lo_u32 v6, v4, v6
	v_add_co_u32_e32 v10, vcc, v10, v13
	v_addc_co_u32_e32 v10, vcc, v14, v15, vcc
	v_addc_co_u32_e32 v13, vcc, 0, v17, vcc
	v_add_co_u32_e32 v6, vcc, v10, v6
	v_addc_co_u32_e32 v10, vcc, 0, v13, vcc
	v_add_co_u32_e32 v3, vcc, v3, v6
	v_addc_co_u32_e32 v4, vcc, v4, v10, vcc
	v_mul_lo_u32 v6, s0, v4
	v_mul_hi_u32 v10, s0, v3
	v_mul_lo_u32 v13, s1, v3
	v_mul_lo_u32 v14, s0, v3
	v_add_u32_e32 v6, v10, v6
	v_add_u32_e32 v6, v6, v13
	v_mul_lo_u32 v15, v3, v6
	v_mul_hi_u32 v16, v3, v14
	v_mul_hi_u32 v17, v3, v6
	;; [unrolled: 1-line block ×3, first 2 shown]
	v_mul_lo_u32 v14, v4, v14
	v_mul_hi_u32 v10, v4, v6
	v_add_co_u32_e32 v15, vcc, v16, v15
	v_addc_co_u32_e32 v16, vcc, 0, v17, vcc
	v_mul_lo_u32 v6, v4, v6
	v_add_co_u32_e32 v14, vcc, v15, v14
	v_addc_co_u32_e32 v13, vcc, v16, v13, vcc
	v_addc_co_u32_e32 v10, vcc, 0, v10, vcc
	v_add_co_u32_e32 v6, vcc, v13, v6
	v_addc_co_u32_e32 v10, vcc, 0, v10, vcc
	v_add_co_u32_e32 v6, vcc, v3, v6
	v_addc_co_u32_e32 v10, vcc, v4, v10, vcc
	v_mad_u64_u32 v[3:4], s[0:1], v11, v10, 0
	v_mul_hi_u32 v13, v11, v6
	v_add_co_u32_e32 v15, vcc, v13, v3
	v_addc_co_u32_e32 v16, vcc, 0, v4, vcc
	v_mad_u64_u32 v[3:4], s[0:1], v12, v6, 0
	v_mad_u64_u32 v[13:14], s[0:1], v12, v10, 0
	v_add_co_u32_e32 v3, vcc, v15, v3
	v_addc_co_u32_e32 v3, vcc, v16, v4, vcc
	v_addc_co_u32_e32 v4, vcc, 0, v14, vcc
	v_add_co_u32_e32 v6, vcc, v3, v13
	v_addc_co_u32_e32 v10, vcc, 0, v4, vcc
	v_mul_lo_u32 v13, s25, v6
	v_mul_lo_u32 v14, s24, v10
	v_mad_u64_u32 v[3:4], s[0:1], s24, v6, 0
	v_add3_u32 v4, v4, v14, v13
	v_sub_u32_e32 v13, v12, v4
	v_mov_b32_e32 v14, s25
	v_sub_co_u32_e32 v3, vcc, v11, v3
	v_subb_co_u32_e64 v13, s[0:1], v13, v14, vcc
	v_subrev_co_u32_e64 v14, s[0:1], s24, v3
	v_subbrev_co_u32_e64 v13, s[0:1], 0, v13, s[0:1]
	v_cmp_le_u32_e64 s[0:1], s25, v13
	v_cndmask_b32_e64 v15, 0, -1, s[0:1]
	v_cmp_le_u32_e64 s[0:1], s24, v14
	v_cndmask_b32_e64 v14, 0, -1, s[0:1]
	v_cmp_eq_u32_e64 s[0:1], s25, v13
	v_cndmask_b32_e64 v13, v15, v14, s[0:1]
	v_add_co_u32_e64 v14, s[0:1], 2, v6
	v_addc_co_u32_e64 v15, s[0:1], 0, v10, s[0:1]
	v_add_co_u32_e64 v16, s[0:1], 1, v6
	v_addc_co_u32_e64 v17, s[0:1], 0, v10, s[0:1]
	v_subb_co_u32_e32 v4, vcc, v12, v4, vcc
	v_cmp_ne_u32_e64 s[0:1], 0, v13
	v_cmp_le_u32_e32 vcc, s25, v4
	v_cndmask_b32_e64 v13, v17, v15, s[0:1]
	v_cndmask_b32_e64 v15, 0, -1, vcc
	v_cmp_le_u32_e32 vcc, s24, v3
	v_cndmask_b32_e64 v3, 0, -1, vcc
	v_cmp_eq_u32_e32 vcc, s25, v4
	v_cndmask_b32_e32 v3, v15, v3, vcc
	v_cmp_ne_u32_e32 vcc, 0, v3
	v_cndmask_b32_e64 v3, v16, v14, s[0:1]
	v_cndmask_b32_e32 v4, v10, v13, vcc
	v_cndmask_b32_e32 v3, v6, v3, vcc
.LBB0_4:                                ;   in Loop: Header=BB0_2 Depth=1
	s_andn2_saveexec_b64 s[0:1], s[26:27]
	s_cbranch_execz .LBB0_6
; %bb.5:                                ;   in Loop: Header=BB0_2 Depth=1
	v_cvt_f32_u32_e32 v3, s24
	s_sub_i32 s26, 0, s24
	v_rcp_iflag_f32_e32 v3, v3
	v_mul_f32_e32 v3, 0x4f7ffffe, v3
	v_cvt_u32_f32_e32 v3, v3
	v_mul_lo_u32 v4, s26, v3
	v_mul_hi_u32 v4, v3, v4
	v_add_u32_e32 v3, v3, v4
	v_mul_hi_u32 v3, v11, v3
	v_mul_lo_u32 v4, v3, s24
	v_add_u32_e32 v6, 1, v3
	v_sub_u32_e32 v4, v11, v4
	v_subrev_u32_e32 v10, s24, v4
	v_cmp_le_u32_e32 vcc, s24, v4
	v_cndmask_b32_e32 v4, v4, v10, vcc
	v_cndmask_b32_e32 v3, v3, v6, vcc
	v_add_u32_e32 v6, 1, v3
	v_cmp_le_u32_e32 vcc, s24, v4
	v_cndmask_b32_e32 v3, v3, v6, vcc
	v_mov_b32_e32 v4, v9
.LBB0_6:                                ;   in Loop: Header=BB0_2 Depth=1
	s_or_b64 exec, exec, s[0:1]
	v_mul_lo_u32 v6, v4, s24
	v_mul_lo_u32 v10, v3, s25
	v_mad_u64_u32 v[13:14], s[0:1], v3, s24, 0
	s_load_dwordx2 s[0:1], s[6:7], 0x0
	s_load_dwordx2 s[24:25], s[2:3], 0x0
	v_add3_u32 v6, v14, v10, v6
	v_sub_co_u32_e32 v10, vcc, v11, v13
	v_subb_co_u32_e32 v6, vcc, v12, v6, vcc
	s_waitcnt lgkmcnt(0)
	v_mul_lo_u32 v11, s0, v6
	v_mul_lo_u32 v12, s1, v10
	v_mad_u64_u32 v[7:8], s[0:1], s0, v10, v[7:8]
	s_add_u32 s22, s22, 1
	s_addc_u32 s23, s23, 0
	s_add_u32 s2, s2, 8
	v_mul_lo_u32 v6, s24, v6
	v_mul_lo_u32 v13, s25, v10
	v_mad_u64_u32 v[1:2], s[0:1], s24, v10, v[1:2]
	v_add3_u32 v8, v12, v8, v11
	s_addc_u32 s3, s3, 0
	v_mov_b32_e32 v10, s14
	s_add_u32 s6, s6, 8
	v_mov_b32_e32 v11, s15
	s_addc_u32 s7, s7, 0
	v_cmp_ge_u64_e32 vcc, s[22:23], v[10:11]
	s_add_u32 s20, s20, 8
	v_add3_u32 v2, v13, v2, v6
	s_addc_u32 s21, s21, 0
	s_cbranch_vccnz .LBB0_8
; %bb.7:                                ;   in Loop: Header=BB0_2 Depth=1
	v_mov_b32_e32 v12, v4
	v_mov_b32_e32 v11, v3
	s_branch .LBB0_2
.LBB0_8:
	s_load_dwordx2 s[0:1], s[4:5], 0x28
	s_lshl_b64 s[6:7], s[14:15], 3
	s_add_u32 s2, s18, s6
	s_addc_u32 s3, s19, s7
                                        ; implicit-def: $sgpr14
                                        ; implicit-def: $vgpr6
	s_waitcnt lgkmcnt(0)
	v_cmp_gt_u64_e32 vcc, s[0:1], v[3:4]
	v_cmp_le_u64_e64 s[0:1], s[0:1], v[3:4]
	s_and_saveexec_b64 s[4:5], s[0:1]
	s_xor_b64 s[0:1], exec, s[4:5]
; %bb.9:
	s_mov_b32 s4, 0x3531ded
	v_mul_hi_u32 v6, v0, s4
	s_mov_b32 s14, 0
                                        ; implicit-def: $vgpr7_vgpr8
	v_mul_u32_u24_e32 v6, 0x4d, v6
	v_sub_u32_e32 v6, v0, v6
                                        ; implicit-def: $vgpr0
; %bb.10:
	s_or_saveexec_b64 s[4:5], s[0:1]
	v_mov_b32_e32 v9, s14
	v_mov_b32_e32 v10, s14
	;; [unrolled: 1-line block ×7, first 2 shown]
                                        ; implicit-def: $vgpr19
                                        ; implicit-def: $vgpr11
                                        ; implicit-def: $vgpr20
                                        ; implicit-def: $vgpr15
                                        ; implicit-def: $vgpr22
                                        ; implicit-def: $vgpr16
                                        ; implicit-def: $vgpr23
                                        ; implicit-def: $vgpr18
                                        ; implicit-def: $vgpr26
                                        ; implicit-def: $vgpr21
                                        ; implicit-def: $vgpr28
                                        ; implicit-def: $vgpr24
                                        ; implicit-def: $vgpr31
                                        ; implicit-def: $vgpr25
	s_xor_b64 exec, exec, s[4:5]
	s_cbranch_execz .LBB0_12
; %bb.11:
	s_add_u32 s0, s16, s6
	s_addc_u32 s1, s17, s7
	s_load_dwordx2 s[0:1], s[0:1], 0x0
	s_mov_b32 s6, 0x3531ded
	v_mul_hi_u32 v6, v0, s6
	v_lshlrev_b64 v[7:8], 2, v[7:8]
	s_waitcnt lgkmcnt(0)
	v_mul_lo_u32 v11, s1, v3
	v_mul_lo_u32 v12, s0, v4
	v_mad_u64_u32 v[9:10], s[0:1], s0, v3, 0
	v_mul_u32_u24_e32 v6, 0x4d, v6
	v_sub_u32_e32 v6, v0, v6
	v_add3_u32 v10, v10, v12, v11
	v_lshlrev_b64 v[9:10], 2, v[9:10]
	v_mov_b32_e32 v0, s9
	v_add_co_u32_e64 v9, s[0:1], s8, v9
	v_addc_co_u32_e64 v0, s[0:1], v0, v10, s[0:1]
	v_add_co_u32_e64 v7, s[0:1], v9, v7
	v_addc_co_u32_e64 v0, s[0:1], v0, v8, s[0:1]
	v_lshlrev_b32_e32 v8, 2, v6
	v_add_co_u32_e64 v7, s[0:1], v7, v8
	v_addc_co_u32_e64 v8, s[0:1], 0, v0, s[0:1]
	global_load_dword v11, v[7:8], off offset:2156
	global_load_dword v9, v[7:8], off
	global_load_dword v10, v[7:8], off offset:308
	global_load_dword v12, v[7:8], off offset:616
	;; [unrolled: 1-line block ×12, first 2 shown]
	s_waitcnt vmcnt(13)
	v_lshrrev_b32_e32 v19, 16, v11
	s_waitcnt vmcnt(6)
	v_lshrrev_b32_e32 v20, 16, v15
	;; [unrolled: 2-line block ×7, first 2 shown]
.LBB0_12:
	s_or_b64 exec, exec, s[4:5]
	s_mov_b32 s0, 0xaaaaaaab
	v_mul_hi_u32 v0, v5, s0
	v_sub_f16_e32 v7, v9, v11
	v_fma_f16 v27, v9, 2.0, -v7
	v_sub_f16_e32 v30, v12, v16
	v_lshrrev_b32_e32 v0, 1, v0
	v_lshl_add_u32 v0, v0, 1, v0
	v_sub_u32_e32 v0, v5, v0
	v_mul_u32_u24_e32 v0, 0x436, v0
	v_sub_f16_e32 v5, v10, v15
	v_lshlrev_b32_e32 v8, 1, v0
	v_fma_f16 v29, v10, 2.0, -v5
	v_add_u32_e32 v0, 0, v8
	v_pack_b32_f16 v27, v27, v7
	v_add_u32_e32 v7, 0x4d, v6
	v_fma_f16 v32, v12, 2.0, -v30
	v_sub_f16_e32 v18, v13, v18
	v_sub_f16_e32 v21, v14, v21
	v_lshl_add_u32 v43, v7, 2, v0
	v_pack_b32_f16 v5, v29, v5
	v_fma_f16 v34, v13, 2.0, -v18
	v_fma_f16 v35, v14, 2.0, -v21
	v_sub_f16_e32 v11, v17, v24
	s_waitcnt vmcnt(0)
	v_sub_f16_e32 v15, v33, v25
	v_lshl_add_u32 v42, v6, 2, v0
	ds_write_b32 v43, v5
	v_pack_b32_f16 v5, v32, v30
	v_fma_f16 v24, v17, 2.0, -v11
	v_fma_f16 v16, v33, 2.0, -v15
	v_lshlrev_b32_e32 v25, 1, v6
	ds_write2_b32 v42, v27, v5 offset1:154
	v_pack_b32_f16 v5, v34, v18
	v_pack_b32_f16 v18, v35, v21
	v_add_u32_e32 v21, 0x200, v42
	ds_write2_b32 v21, v5, v18 offset0:103 offset1:180
	v_pack_b32_f16 v5, v24, v11
	v_pack_b32_f16 v18, v16, v15
	v_add_u32_e32 v21, 0x400, v42
	v_add_u32_e32 v0, v0, v25
	s_load_dwordx2 s[2:3], s[2:3], 0x0
	ds_write2_b32 v21, v5, v18 offset0:129 offset1:206
	s_waitcnt lgkmcnt(0)
	s_barrier
	v_add3_u32 v5, 0, v25, v8
	ds_read_u16 v49, v0
	ds_read_u16 v34, v5 offset:196
	ds_read_u16 v40, v5 offset:392
	;; [unrolled: 1-line block ×10, first 2 shown]
	v_cmp_gt_u32_e64 s[0:1], 21, v6
	v_add_u32_e32 v47, 0x268, v42
	v_add_u32_e32 v45, 0x4d0, v42
	;; [unrolled: 1-line block ×3, first 2 shown]
                                        ; implicit-def: $vgpr21
                                        ; implicit-def: $vgpr39
                                        ; implicit-def: $vgpr25
                                        ; implicit-def: $vgpr48
                                        ; implicit-def: $vgpr46
                                        ; implicit-def: $vgpr41
                                        ; implicit-def: $vgpr37
                                        ; implicit-def: $vgpr27
	s_and_saveexec_b64 s[4:5], s[0:1]
	s_cbranch_execz .LBB0_14
; %bb.13:
	ds_read_u16 v11, v5 offset:154
	ds_read_u16 v16, v5 offset:350
	;; [unrolled: 1-line block ×11, first 2 shown]
.LBB0_14:
	s_or_b64 exec, exec, s[4:5]
	v_lshrrev_b32_e32 v10, 16, v10
	v_sub_f16_e32 v50, v10, v20
	v_fma_f16 v51, v10, 2.0, -v50
	v_lshrrev_b32_e32 v10, 16, v12
	v_sub_f16_e32 v12, v10, v22
	v_fma_f16 v22, v10, 2.0, -v12
	v_lshrrev_b32_e32 v10, 16, v13
	v_lshrrev_b32_e32 v9, 16, v9
	v_sub_f16_e32 v13, v10, v23
	v_sub_f16_e32 v19, v9, v19
	v_fma_f16 v23, v10, 2.0, -v13
	v_lshrrev_b32_e32 v10, 16, v14
	v_fma_f16 v9, v9, 2.0, -v19
	v_sub_f16_e32 v14, v10, v26
	v_lshrrev_b32_e32 v17, 16, v17
	v_pack_b32_f16 v12, v22, v12
	v_fma_f16 v52, v10, 2.0, -v14
	v_sub_f16_e32 v10, v17, v28
	v_lshrrev_b32_e32 v26, 16, v33
	s_waitcnt lgkmcnt(0)
	s_barrier
	v_pack_b32_f16 v9, v9, v19
	ds_write_b32 v47, v12
	v_pack_b32_f16 v12, v23, v13
	v_fma_f16 v17, v17, 2.0, -v10
	v_sub_f16_e32 v20, v26, v31
	ds_write2_b32 v42, v9, v12 offset1:231
	v_pack_b32_f16 v9, v52, v14
	v_fma_f16 v26, v26, 2.0, -v20
	ds_write_b32 v45, v9
	v_pack_b32_f16 v9, v17, v10
	v_pack_b32_f16 v19, v51, v50
	ds_write_b32 v42, v9 offset:1540
	v_pack_b32_f16 v9, v26, v20
	ds_write_b32 v43, v19
	ds_write_b32 v44, v9
	s_waitcnt lgkmcnt(0)
	s_barrier
	ds_read_u16 v12, v0
	ds_read_u16 v19, v5 offset:196
	ds_read_u16 v17, v5 offset:392
	;; [unrolled: 1-line block ×10, first 2 shown]
                                        ; implicit-def: $vgpr53
                                        ; implicit-def: $vgpr51
                                        ; implicit-def: $vgpr56
                                        ; implicit-def: $vgpr55
                                        ; implicit-def: $vgpr47
                                        ; implicit-def: $vgpr44
                                        ; implicit-def: $vgpr45
                                        ; implicit-def: $vgpr57
	s_and_saveexec_b64 s[4:5], s[0:1]
	s_cbranch_execz .LBB0_16
; %bb.15:
	ds_read_u16 v10, v5 offset:154
	ds_read_u16 v26, v5 offset:350
	;; [unrolled: 1-line block ×11, first 2 shown]
.LBB0_16:
	s_or_b64 exec, exec, s[4:5]
	v_and_b32_e32 v50, 1, v6
	v_mul_u32_u24_e32 v9, 10, v50
	v_lshlrev_b32_e32 v68, 2, v9
	global_load_dwordx4 v[58:61], v68, s[12:13]
	global_load_dwordx4 v[62:65], v68, s[12:13] offset:16
	v_and_b32_e32 v9, 1, v7
	v_mul_u32_u24_e32 v22, 10, v9
	v_lshlrev_b32_e32 v70, 2, v22
	s_movk_i32 s7, 0x3abb
	s_movk_i32 s6, 0x36a6
	s_mov_b32 s8, 0xb08e
	s_mov_b32 s9, 0xb93d
	;; [unrolled: 1-line block ×3, first 2 shown]
	s_waitcnt vmcnt(1) lgkmcnt(9)
	v_mul_f16_sdwa v22, v19, v58 dst_sel:DWORD dst_unused:UNUSED_PAD src0_sel:DWORD src1_sel:WORD_1
	v_mul_f16_sdwa v23, v34, v58 dst_sel:DWORD dst_unused:UNUSED_PAD src0_sel:DWORD src1_sel:WORD_1
	s_waitcnt lgkmcnt(8)
	v_mul_f16_sdwa v66, v17, v59 dst_sel:DWORD dst_unused:UNUSED_PAD src0_sel:DWORD src1_sel:WORD_1
	v_mul_f16_sdwa v67, v40, v59 dst_sel:DWORD dst_unused:UNUSED_PAD src0_sel:DWORD src1_sel:WORD_1
	v_fma_f16 v33, v34, v58, -v22
	s_waitcnt lgkmcnt(7)
	v_mul_f16_sdwa v69, v13, v60 dst_sel:DWORD dst_unused:UNUSED_PAD src0_sel:DWORD src1_sel:WORD_1
	v_fma_f16 v34, v19, v58, v23
	v_mul_f16_sdwa v19, v38, v60 dst_sel:DWORD dst_unused:UNUSED_PAD src0_sel:DWORD src1_sel:WORD_1
	v_fma_f16 v22, v40, v59, -v66
	s_waitcnt lgkmcnt(6)
	v_mul_f16_sdwa v40, v14, v61 dst_sel:DWORD dst_unused:UNUSED_PAD src0_sel:DWORD src1_sel:WORD_1
	v_mul_f16_sdwa v58, v36, v61 dst_sel:DWORD dst_unused:UNUSED_PAD src0_sel:DWORD src1_sel:WORD_1
	v_fma_f16 v23, v17, v59, v67
	v_fma_f16 v17, v38, v60, -v69
	v_fma_f16 v19, v13, v60, v19
	v_fma_f16 v13, v36, v61, -v40
	v_fma_f16 v14, v14, v61, v58
	global_load_dwordx2 v[66:67], v68, s[12:13] offset:32
	global_load_dwordx4 v[58:61], v70, s[12:13]
	s_waitcnt vmcnt(2) lgkmcnt(5)
	v_mul_f16_sdwa v36, v28, v62 dst_sel:DWORD dst_unused:UNUSED_PAD src0_sel:DWORD src1_sel:WORD_1
	v_mul_f16_sdwa v38, v24, v62 dst_sel:DWORD dst_unused:UNUSED_PAD src0_sel:DWORD src1_sel:WORD_1
	s_waitcnt lgkmcnt(4)
	v_mul_f16_sdwa v40, v31, v63 dst_sel:DWORD dst_unused:UNUSED_PAD src0_sel:DWORD src1_sel:WORD_1
	v_fma_f16 v24, v24, v62, -v36
	v_mul_f16_sdwa v36, v29, v63 dst_sel:DWORD dst_unused:UNUSED_PAD src0_sel:DWORD src1_sel:WORD_1
	v_fma_f16 v28, v28, v62, v38
	s_waitcnt lgkmcnt(3)
	v_mul_f16_sdwa v38, v42, v64 dst_sel:DWORD dst_unused:UNUSED_PAD src0_sel:DWORD src1_sel:WORD_1
	v_fma_f16 v29, v29, v63, -v40
	v_mul_f16_sdwa v40, v35, v64 dst_sel:DWORD dst_unused:UNUSED_PAD src0_sel:DWORD src1_sel:WORD_1
	v_fma_f16 v31, v31, v63, v36
	;; [unrolled: 5-line block ×3, first 2 shown]
	v_fma_f16 v42, v32, v65, -v36
	v_fma_f16 v43, v43, v65, v35
	global_load_dwordx4 v[62:65], v70, s[12:13] offset:16
	global_load_dwordx2 v[68:69], v70, s[12:13] offset:32
	s_waitcnt vmcnt(0) lgkmcnt(0)
	s_barrier
	v_mul_f16_sdwa v70, v52, v66 dst_sel:DWORD dst_unused:UNUSED_PAD src0_sel:DWORD src1_sel:WORD_1
	v_mul_f16_sdwa v32, v26, v58 dst_sel:DWORD dst_unused:UNUSED_PAD src0_sel:DWORD src1_sel:WORD_1
	v_fma_f16 v35, v16, v58, -v32
	v_mul_f16_sdwa v16, v16, v58 dst_sel:DWORD dst_unused:UNUSED_PAD src0_sel:DWORD src1_sel:WORD_1
	v_fma_f16 v36, v26, v58, v16
	v_mul_f16_sdwa v16, v20, v59 dst_sel:DWORD dst_unused:UNUSED_PAD src0_sel:DWORD src1_sel:WORD_1
	v_fma_f16 v26, v15, v59, -v16
	v_mul_f16_sdwa v15, v15, v59 dst_sel:DWORD dst_unused:UNUSED_PAD src0_sel:DWORD src1_sel:WORD_1
	v_fma_f16 v32, v20, v59, v15
	;; [unrolled: 4-line block ×3, first 2 shown]
	v_mul_f16_sdwa v15, v51, v61 dst_sel:DWORD dst_unused:UNUSED_PAD src0_sel:DWORD src1_sel:WORD_1
	v_fma_f16 v15, v39, v61, -v15
	v_mul_f16_sdwa v16, v39, v61 dst_sel:DWORD dst_unused:UNUSED_PAD src0_sel:DWORD src1_sel:WORD_1
	v_mul_f16_sdwa v39, v30, v66 dst_sel:DWORD dst_unused:UNUSED_PAD src0_sel:DWORD src1_sel:WORD_1
	;; [unrolled: 1-line block ×5, first 2 shown]
	v_fma_f16 v16, v51, v61, v16
	v_fma_f16 v51, v30, v66, -v70
	v_mul_f16_sdwa v30, v57, v63 dst_sel:DWORD dst_unused:UNUSED_PAD src0_sel:DWORD src1_sel:WORD_1
	v_fma_f16 v52, v52, v66, v39
	v_mul_f16_sdwa v39, v27, v63 dst_sel:DWORD dst_unused:UNUSED_PAD src0_sel:DWORD src1_sel:WORD_1
	v_fma_f16 v53, v18, v67, -v53
	v_fma_f16 v54, v54, v67, v58
	v_mul_f16_sdwa v58, v37, v64 dst_sel:DWORD dst_unused:UNUSED_PAD src0_sel:DWORD src1_sel:WORD_1
	v_fma_f16 v18, v25, v62, -v59
	v_mul_f16_sdwa v59, v47, v68 dst_sel:DWORD dst_unused:UNUSED_PAD src0_sel:DWORD src1_sel:WORD_1
	v_mul_f16_sdwa v60, v25, v62 dst_sel:DWORD dst_unused:UNUSED_PAD src0_sel:DWORD src1_sel:WORD_1
	;; [unrolled: 1-line block ×3, first 2 shown]
	v_fma_f16 v27, v27, v63, -v30
	v_fma_f16 v30, v57, v63, v39
	v_fma_f16 v39, v45, v64, v58
	v_fma_f16 v45, v46, v68, -v59
	v_mul_f16_sdwa v46, v46, v68 dst_sel:DWORD dst_unused:UNUSED_PAD src0_sel:DWORD src1_sel:WORD_1
	v_sub_f16_e32 v57, v34, v54
	v_mul_f16_sdwa v66, v44, v65 dst_sel:DWORD dst_unused:UNUSED_PAD src0_sel:DWORD src1_sel:WORD_1
	v_mul_f16_sdwa v67, v41, v65 dst_sel:DWORD dst_unused:UNUSED_PAD src0_sel:DWORD src1_sel:WORD_1
	v_fma_f16 v25, v56, v62, v60
	v_fma_f16 v37, v37, v64, -v61
	v_fma_f16 v46, v47, v68, v46
	v_mul_f16_sdwa v47, v55, v69 dst_sel:DWORD dst_unused:UNUSED_PAD src0_sel:DWORD src1_sel:WORD_1
	v_add_f16_e32 v56, v33, v53
	v_mul_f16_e32 v58, 0xb853, v57
	v_mul_f16_e32 v60, 0xbb47, v57
	;; [unrolled: 1-line block ×5, first 2 shown]
	v_fma_f16 v41, v41, v65, -v66
	v_fma_f16 v44, v44, v65, v67
	v_fma_f16 v47, v48, v69, -v47
	v_mul_f16_sdwa v48, v48, v69 dst_sel:DWORD dst_unused:UNUSED_PAD src0_sel:DWORD src1_sel:WORD_1
	v_fma_f16 v59, v56, s7, -v58
	v_fma_f16 v58, v56, s7, v58
	v_fma_f16 v61, v56, s6, -v60
	v_fma_f16 v60, v56, s6, v60
	;; [unrolled: 2-line block ×5, first 2 shown]
	v_sub_f16_e32 v57, v23, v52
	v_fma_f16 v48, v55, v69, v48
	v_add_f16_e32 v55, v49, v33
	v_add_f16_e32 v59, v49, v59
	v_add_f16_e32 v58, v49, v58
	v_add_f16_e32 v61, v49, v61
	v_add_f16_e32 v60, v49, v60
	v_add_f16_e32 v63, v49, v63
	v_add_f16_e32 v62, v49, v62
	v_add_f16_e32 v65, v49, v65
	v_add_f16_e32 v64, v49, v64
	v_add_f16_e32 v66, v49, v66
	v_add_f16_e32 v49, v49, v56
	v_add_f16_e32 v56, v22, v51
	v_mul_f16_e32 v67, 0xbb47, v57
	v_fma_f16 v68, v56, s6, -v67
	v_fma_f16 v67, v56, s6, v67
	v_add_f16_e32 v58, v67, v58
	v_mul_f16_e32 v67, 0xba0c, v57
	v_add_f16_e32 v59, v68, v59
	v_fma_f16 v68, v56, s9, -v67
	v_fma_f16 v67, v56, s9, v67
	v_add_f16_e32 v60, v67, v60
	v_mul_f16_e32 v67, 0x3482, v57
	v_add_f16_e32 v61, v68, v61
	v_fma_f16 v68, v56, s14, -v67
	v_fma_f16 v67, v56, s14, v67
	v_add_f16_e32 v62, v67, v62
	v_mul_f16_e32 v67, 0x3beb, v57
	v_add_f16_e32 v63, v68, v63
	v_fma_f16 v68, v56, s8, -v67
	v_fma_f16 v67, v56, s8, v67
	v_mul_f16_e32 v57, 0x3853, v57
	v_add_f16_e32 v64, v67, v64
	v_fma_f16 v67, v56, s7, -v57
	v_fma_f16 v56, v56, s7, v57
	v_sub_f16_e32 v57, v19, v43
	v_add_f16_e32 v66, v67, v66
	v_add_f16_e32 v49, v56, v49
	v_add_f16_e32 v56, v17, v42
	v_mul_f16_e32 v67, 0xbbeb, v57
	v_add_f16_e32 v65, v68, v65
	v_fma_f16 v68, v56, s8, -v67
	v_fma_f16 v67, v56, s8, v67
	v_add_f16_e32 v58, v67, v58
	v_mul_f16_e32 v67, 0x3482, v57
	v_add_f16_e32 v59, v68, v59
	v_fma_f16 v68, v56, s14, -v67
	v_fma_f16 v67, v56, s14, v67
	v_add_f16_e32 v60, v67, v60
	v_mul_f16_e32 v67, 0x3b47, v57
	v_add_f16_e32 v61, v68, v61
	v_fma_f16 v68, v56, s6, -v67
	v_fma_f16 v67, v56, s6, v67
	v_add_f16_e32 v62, v67, v62
	v_mul_f16_e32 v67, 0xb853, v57
	v_add_f16_e32 v63, v68, v63
	v_fma_f16 v68, v56, s7, -v67
	v_fma_f16 v67, v56, s7, v67
	v_mul_f16_e32 v57, 0xba0c, v57
	v_add_f16_e32 v64, v67, v64
	v_fma_f16 v67, v56, s9, -v57
	v_fma_f16 v56, v56, s9, v57
	v_sub_f16_e32 v57, v14, v40
	v_add_f16_e32 v66, v67, v66
	v_add_f16_e32 v49, v56, v49
	v_add_f16_e32 v56, v13, v38
	v_mul_f16_e32 v67, 0xba0c, v57
	v_add_f16_e32 v65, v68, v65
	v_fma_f16 v68, v56, s9, -v67
	v_fma_f16 v67, v56, s9, v67
	v_add_f16_e32 v58, v67, v58
	v_mul_f16_e32 v67, 0x3beb, v57
	v_add_f16_e32 v59, v68, v59
	v_fma_f16 v68, v56, s8, -v67
	v_fma_f16 v67, v56, s8, v67
	v_add_f16_e32 v60, v67, v60
	v_mul_f16_e32 v67, 0xb853, v57
	v_add_f16_e32 v61, v68, v61
	v_fma_f16 v68, v56, s7, -v67
	v_fma_f16 v67, v56, s7, v67
	v_add_f16_e32 v62, v67, v62
	v_mul_f16_e32 v67, 0xb482, v57
	v_add_f16_e32 v63, v68, v63
	v_fma_f16 v68, v56, s14, -v67
	v_fma_f16 v67, v56, s14, v67
	v_mul_f16_e32 v57, 0x3b47, v57
	v_add_f16_e32 v64, v67, v64
	v_fma_f16 v67, v56, s6, -v57
	v_fma_f16 v56, v56, s6, v57
	v_sub_f16_e32 v57, v28, v31
	v_add_f16_e32 v66, v67, v66
	v_add_f16_e32 v49, v56, v49
	v_add_f16_e32 v56, v24, v29
	v_mul_f16_e32 v67, 0xb482, v57
	v_add_f16_e32 v65, v68, v65
	v_fma_f16 v68, v56, s14, -v67
	v_fma_f16 v67, v56, s14, v67
	v_add_f16_e32 v58, v67, v58
	v_mul_f16_e32 v67, 0x3853, v57
	v_add_f16_e32 v59, v68, v59
	v_fma_f16 v68, v56, s7, -v67
	v_fma_f16 v67, v56, s7, v67
	v_add_f16_e32 v60, v67, v60
	v_mul_f16_e32 v67, 0xba0c, v57
	v_add_f16_e32 v55, v55, v22
	v_add_f16_e32 v61, v68, v61
	v_fma_f16 v68, v56, s9, -v67
	v_fma_f16 v67, v56, s9, v67
	v_add_f16_e32 v55, v55, v17
	v_add_f16_e32 v62, v67, v62
	v_mul_f16_e32 v67, 0x3b47, v57
	v_add_f16_e32 v55, v55, v13
	v_add_f16_e32 v63, v68, v63
	v_fma_f16 v68, v56, s6, -v67
	v_fma_f16 v67, v56, s6, v67
	v_mul_f16_e32 v57, 0xbbeb, v57
	v_add_f16_e32 v55, v55, v24
	v_add_f16_e32 v64, v67, v64
	v_fma_f16 v67, v56, s8, -v57
	v_fma_f16 v56, v56, s8, v57
	v_add_f16_e32 v55, v55, v29
	v_add_f16_e32 v49, v56, v49
	v_lshrrev_b32_e32 v56, 1, v6
	v_add_f16_e32 v55, v55, v38
	v_mul_u32_u24_e32 v56, 22, v56
	v_add_f16_e32 v55, v55, v42
	v_or_b32_e32 v50, v56, v50
	v_add_f16_e32 v55, v55, v51
	v_lshlrev_b32_e32 v50, 1, v50
	v_add_f16_e32 v55, v55, v53
	v_add3_u32 v50, 0, v50, v8
	v_add_f16_e32 v65, v68, v65
	v_add_f16_e32 v66, v67, v66
	ds_write_b16 v50, v55
	ds_write_b16 v50, v59 offset:4
	ds_write_b16 v50, v61 offset:8
	;; [unrolled: 1-line block ×10, first 2 shown]
	v_lshrrev_b32_e32 v49, 1, v7
	s_and_saveexec_b64 s[4:5], s[0:1]
	s_cbranch_execz .LBB0_18
; %bb.17:
	v_sub_f16_e32 v57, v36, v48
	v_add_f16_e32 v56, v35, v47
	v_mul_f16_e32 v58, 0xb482, v57
	v_sub_f16_e32 v61, v32, v46
	v_fma_f16 v59, v56, s14, v58
	v_add_f16_e32 v60, v26, v45
	v_mul_f16_e32 v62, 0x3853, v61
	v_add_f16_e32 v59, v11, v59
	v_fma_f16 v63, v60, s7, v62
	v_sub_f16_e32 v64, v21, v44
	v_add_f16_e32 v59, v63, v59
	v_add_f16_e32 v63, v20, v41
	v_mul_f16_e32 v65, 0xba0c, v64
	v_fma_f16 v66, v63, s9, v65
	v_sub_f16_e32 v67, v16, v39
	v_fma_f16 v58, v56, s14, -v58
	v_add_f16_e32 v59, v66, v59
	v_add_f16_e32 v66, v15, v37
	v_mul_f16_e32 v68, 0x3b47, v67
	v_add_f16_e32 v58, v11, v58
	v_fma_f16 v62, v60, s7, -v62
	v_fma_f16 v69, v66, s6, v68
	v_sub_f16_e32 v70, v25, v30
	v_add_f16_e32 v58, v62, v58
	v_fma_f16 v62, v63, s9, -v65
	v_add_f16_e32 v59, v69, v59
	v_add_f16_e32 v69, v18, v27
	v_mul_f16_e32 v71, 0xbbeb, v70
	v_add_f16_e32 v58, v62, v58
	v_fma_f16 v62, v66, s6, -v68
	v_add_f16_e32 v58, v62, v58
	v_fma_f16 v62, v69, s8, -v71
	v_add_f16_e32 v58, v62, v58
	v_mul_f16_e32 v62, 0xba0c, v57
	v_fma_f16 v65, v56, s9, v62
	v_mul_f16_e32 v68, 0x3beb, v61
	v_fma_f16 v72, v69, s8, v71
	v_add_f16_e32 v65, v11, v65
	v_fma_f16 v71, v60, s8, v68
	v_add_f16_e32 v65, v71, v65
	v_mul_f16_e32 v71, 0xb853, v64
	v_add_f16_e32 v59, v72, v59
	v_fma_f16 v72, v63, s7, v71
	v_fma_f16 v62, v56, s9, -v62
	v_add_f16_e32 v65, v72, v65
	v_mul_f16_e32 v72, 0xb482, v67
	v_add_f16_e32 v62, v11, v62
	v_fma_f16 v68, v60, s8, -v68
	v_fma_f16 v73, v66, s14, v72
	v_add_f16_e32 v62, v68, v62
	v_fma_f16 v68, v63, s7, -v71
	v_add_f16_e32 v65, v73, v65
	v_mul_f16_e32 v73, 0x3b47, v70
	v_add_f16_e32 v62, v68, v62
	v_fma_f16 v68, v66, s14, -v72
	v_add_f16_e32 v62, v68, v62
	v_fma_f16 v68, v69, s6, -v73
	v_add_f16_e32 v62, v68, v62
	v_mul_f16_e32 v68, 0xbbeb, v57
	v_fma_f16 v71, v56, s8, v68
	v_mul_f16_e32 v72, 0x3482, v61
	v_fma_f16 v74, v69, s6, v73
	v_add_f16_e32 v71, v11, v71
	v_fma_f16 v73, v60, s14, v72
	v_add_f16_e32 v71, v73, v71
	v_mul_f16_e32 v73, 0x3b47, v64
	v_add_f16_e32 v65, v74, v65
	v_fma_f16 v74, v63, s6, v73
	v_fma_f16 v68, v56, s8, -v68
	v_add_f16_e32 v71, v74, v71
	v_mul_f16_e32 v74, 0xb853, v67
	v_add_f16_e32 v68, v11, v68
	v_fma_f16 v72, v60, s14, -v72
	v_fma_f16 v75, v66, s7, v74
	v_add_f16_e32 v68, v72, v68
	v_fma_f16 v72, v63, s6, -v73
	;; [unrolled: 25-line block ×3, first 2 shown]
	v_add_f16_e32 v73, v77, v73
	v_mul_f16_e32 v77, 0x3853, v70
	v_add_f16_e32 v72, v74, v72
	v_fma_f16 v74, v66, s8, -v76
	v_add_f16_e32 v55, v11, v35
	v_add_f16_e32 v72, v74, v72
	v_fma_f16 v74, v69, s7, -v77
	v_mul_f16_e32 v57, 0xb853, v57
	v_add_f16_e32 v55, v55, v26
	v_add_f16_e32 v72, v74, v72
	v_fma_f16 v74, v56, s7, v57
	v_mul_f16_e32 v61, 0xbb47, v61
	v_fma_f16 v56, v56, s7, -v57
	v_add_f16_e32 v55, v55, v20
	v_add_f16_e32 v74, v11, v74
	v_mul_f16_e32 v64, 0xbbeb, v64
	v_add_f16_e32 v11, v11, v56
	v_fma_f16 v56, v60, s6, -v61
	v_add_f16_e32 v55, v55, v15
	v_mul_f16_e32 v67, 0xba0c, v67
	v_add_f16_e32 v11, v56, v11
	v_fma_f16 v56, v63, s8, -v64
	;; [unrolled: 4-line block ×3, first 2 shown]
	v_add_f16_e32 v55, v55, v27
	v_add_f16_e32 v11, v56, v11
	v_fma_f16 v56, v69, s14, -v70
	v_add_f16_e32 v55, v55, v37
	v_fma_f16 v75, v60, s6, v61
	v_add_f16_e32 v11, v56, v11
	v_mul_u32_u24_e32 v56, 22, v49
	v_add_f16_e32 v55, v55, v41
	v_add_f16_e32 v74, v75, v74
	v_fma_f16 v75, v63, s8, v64
	v_or_b32_e32 v56, v56, v9
	v_add_f16_e32 v55, v55, v45
	v_add_f16_e32 v74, v75, v74
	v_fma_f16 v75, v66, s9, v67
	v_lshlrev_b32_e32 v56, 1, v56
	v_add_f16_e32 v55, v55, v47
	v_fma_f16 v78, v69, s7, v77
	v_add_f16_e32 v74, v75, v74
	v_fma_f16 v75, v69, s14, v70
	v_add3_u32 v56, 0, v56, v8
	v_add_f16_e32 v73, v78, v73
	v_add_f16_e32 v74, v75, v74
	ds_write_b16 v56, v55
	ds_write_b16 v56, v11 offset:4
	ds_write_b16 v56, v72 offset:8
	;; [unrolled: 1-line block ×10, first 2 shown]
.LBB0_18:
	s_or_b64 exec, exec, s[4:5]
	v_add_f16_e32 v11, v12, v34
	v_add_f16_e32 v11, v11, v23
	;; [unrolled: 1-line block ×9, first 2 shown]
	v_sub_f16_e32 v33, v33, v53
	v_add_f16_e32 v55, v11, v54
	v_add_f16_e32 v11, v34, v54
	v_mul_f16_e32 v34, 0xb853, v33
	v_mul_f16_e32 v54, 0xbb47, v33
	;; [unrolled: 1-line block ×5, first 2 shown]
	v_fma_f16 v53, v11, s7, v34
	v_fma_f16 v34, v11, s7, -v34
	v_fma_f16 v56, v11, s6, v54
	v_fma_f16 v54, v11, s6, -v54
	;; [unrolled: 2-line block ×5, first 2 shown]
	v_sub_f16_e32 v22, v22, v51
	v_add_f16_e32 v53, v12, v53
	v_add_f16_e32 v34, v12, v34
	;; [unrolled: 1-line block ×11, first 2 shown]
	v_mul_f16_e32 v23, 0xbb47, v22
	v_fma_f16 v33, v12, s6, v23
	v_fma_f16 v23, v12, s6, -v23
	v_add_f16_e32 v23, v23, v34
	v_mul_f16_e32 v34, 0xba0c, v22
	v_fma_f16 v51, v12, s9, v34
	v_fma_f16 v34, v12, s9, -v34
	v_mul_f16_e32 v52, 0x3482, v22
	v_add_f16_e32 v33, v33, v53
	v_add_f16_e32 v34, v34, v54
	v_fma_f16 v53, v12, s14, v52
	v_fma_f16 v52, v12, s14, -v52
	v_mul_f16_e32 v54, 0x3beb, v22
	v_mul_f16_e32 v22, 0x3853, v22
	v_add_f16_e32 v51, v51, v56
	v_add_f16_e32 v52, v52, v57
	v_fma_f16 v56, v12, s8, v54
	v_fma_f16 v54, v12, s8, -v54
	v_fma_f16 v57, v12, s7, v22
	v_fma_f16 v12, v12, s7, -v22
	v_sub_f16_e32 v17, v17, v42
	v_add_f16_e32 v11, v12, v11
	v_add_f16_e32 v12, v19, v43
	v_mul_f16_e32 v19, 0xbbeb, v17
	v_fma_f16 v22, v12, s8, v19
	v_fma_f16 v19, v12, s8, -v19
	v_add_f16_e32 v19, v19, v23
	v_mul_f16_e32 v23, 0x3482, v17
	v_add_f16_e32 v22, v22, v33
	v_fma_f16 v33, v12, s14, v23
	v_fma_f16 v23, v12, s14, -v23
	v_add_f16_e32 v23, v23, v34
	v_mul_f16_e32 v34, 0x3b47, v17
	v_fma_f16 v42, v12, s6, v34
	v_fma_f16 v34, v12, s6, -v34
	v_mul_f16_e32 v43, 0xb853, v17
	v_mul_f16_e32 v17, 0xba0c, v17
	v_add_f16_e32 v33, v33, v51
	v_add_f16_e32 v34, v34, v52
	v_fma_f16 v51, v12, s7, v43
	v_fma_f16 v43, v12, s7, -v43
	v_fma_f16 v52, v12, s9, v17
	v_fma_f16 v12, v12, s9, -v17
	v_sub_f16_e32 v13, v13, v38
	v_add_f16_e32 v11, v12, v11
	v_add_f16_e32 v12, v14, v40
	v_mul_f16_e32 v14, 0xba0c, v13
	v_fma_f16 v17, v12, s9, v14
	v_fma_f16 v14, v12, s9, -v14
	v_add_f16_e32 v14, v14, v19
	v_mul_f16_e32 v19, 0x3beb, v13
	v_add_f16_e32 v17, v17, v22
	v_fma_f16 v22, v12, s8, v19
	v_fma_f16 v19, v12, s8, -v19
	v_add_f16_e32 v19, v19, v23
	v_mul_f16_e32 v23, 0xb853, v13
	v_add_f16_e32 v22, v22, v33
	v_fma_f16 v33, v12, s7, v23
	v_fma_f16 v23, v12, s7, -v23
	v_add_f16_e32 v23, v23, v34
	v_mul_f16_e32 v34, 0xb482, v13
	v_mul_f16_e32 v13, 0x3b47, v13
	v_fma_f16 v38, v12, s14, v34
	v_fma_f16 v34, v12, s14, -v34
	v_fma_f16 v40, v12, s6, v13
	v_fma_f16 v12, v12, s6, -v13
	v_sub_f16_e32 v13, v24, v29
	v_add_f16_e32 v53, v53, v58
	v_add_f16_e32 v11, v12, v11
	v_add_f16_e32 v12, v28, v31
	v_mul_f16_e32 v24, 0xb482, v13
	v_add_f16_e32 v54, v54, v59
	v_add_f16_e32 v42, v42, v53
	v_fma_f16 v28, v12, s14, v24
	v_add_f16_e32 v43, v43, v54
	v_add_f16_e32 v33, v33, v42
	;; [unrolled: 1-line block ×3, first 2 shown]
	v_fma_f16 v17, v12, s14, -v24
	v_add_f16_e32 v57, v57, v61
	v_add_f16_e32 v34, v34, v43
	v_add_f16_e32 v43, v17, v14
	v_mul_f16_e32 v14, 0x3853, v13
	v_add_f16_e32 v56, v56, v60
	v_add_f16_e32 v52, v52, v57
	v_fma_f16 v17, v12, s7, v14
	v_fma_f16 v14, v12, s7, -v14
	v_add_f16_e32 v51, v51, v56
	v_add_f16_e32 v40, v40, v52
	;; [unrolled: 1-line block ×3, first 2 shown]
	v_mul_f16_e32 v14, 0xba0c, v13
	v_add_f16_e32 v38, v38, v51
	v_add_f16_e32 v51, v17, v22
	v_fma_f16 v17, v12, s9, v14
	v_fma_f16 v14, v12, s9, -v14
	v_add_f16_e32 v54, v14, v23
	v_mul_f16_e32 v14, 0x3b47, v13
	v_add_f16_e32 v53, v17, v33
	v_fma_f16 v17, v12, s6, v14
	v_fma_f16 v14, v12, s6, -v14
	v_mul_f16_e32 v13, 0xbbeb, v13
	v_add_f16_e32 v56, v14, v34
	v_fma_f16 v14, v12, s8, v13
	v_fma_f16 v12, v12, s8, -v13
	v_add_f16_e32 v38, v17, v38
	v_add_f16_e32 v40, v14, v40
	;; [unrolled: 1-line block ×3, first 2 shown]
	s_waitcnt lgkmcnt(0)
	s_barrier
	ds_read_u16 v12, v0
	ds_read_u16 v17, v5 offset:1232
	ds_read_u16 v13, v5 offset:1078
	;; [unrolled: 1-line block ×13, first 2 shown]
	s_waitcnt lgkmcnt(0)
	s_barrier
	ds_write_b16 v50, v55
	ds_write_b16 v50, v42 offset:4
	ds_write_b16 v50, v51 offset:8
	ds_write_b16 v50, v53 offset:12
	ds_write_b16 v50, v38 offset:16
	ds_write_b16 v50, v40 offset:20
	ds_write_b16 v50, v57 offset:24
	ds_write_b16 v50, v56 offset:28
	ds_write_b16 v50, v54 offset:32
	ds_write_b16 v50, v52 offset:36
	ds_write_b16 v50, v43 offset:40
	s_and_saveexec_b64 s[4:5], s[0:1]
	s_cbranch_execz .LBB0_20
; %bb.19:
	v_add_f16_e32 v38, v10, v36
	v_add_f16_e32 v38, v38, v32
	;; [unrolled: 1-line block ×9, first 2 shown]
	v_sub_f16_e32 v35, v35, v47
	v_add_f16_e32 v38, v38, v48
	v_add_f16_e32 v36, v36, v48
	v_mul_f16_e32 v40, 0xb853, v35
	s_movk_i32 s0, 0x3abb
	v_mul_f16_e32 v43, 0xbb47, v35
	s_movk_i32 s1, 0x36a6
	v_mul_f16_e32 v48, 0xbbeb, v35
	s_mov_b32 s6, 0xb08e
	v_mul_f16_e32 v51, 0xba0c, v35
	s_mov_b32 s7, 0xb93d
	;; [unrolled: 2-line block ×3, first 2 shown]
	v_fma_f16 v42, v36, s0, v40
	v_fma_f16 v40, v36, s0, -v40
	v_fma_f16 v47, v36, s1, v43
	v_fma_f16 v43, v36, s1, -v43
	;; [unrolled: 2-line block ×5, first 2 shown]
	v_sub_f16_e32 v26, v26, v45
	v_add_f16_e32 v42, v10, v42
	v_add_f16_e32 v40, v10, v40
	;; [unrolled: 1-line block ×11, first 2 shown]
	v_mul_f16_e32 v35, 0xbb47, v26
	v_fma_f16 v36, v32, s1, v35
	v_fma_f16 v35, v32, s1, -v35
	v_add_f16_e32 v35, v35, v40
	v_mul_f16_e32 v40, 0xba0c, v26
	v_add_f16_e32 v36, v36, v42
	v_fma_f16 v42, v32, s7, v40
	v_fma_f16 v40, v32, s7, -v40
	v_add_f16_e32 v40, v40, v43
	v_mul_f16_e32 v43, 0x3482, v26
	v_fma_f16 v45, v32, s8, v43
	v_fma_f16 v43, v32, s8, -v43
	v_mul_f16_e32 v46, 0x3beb, v26
	v_mul_f16_e32 v26, 0x3853, v26
	v_add_f16_e32 v43, v43, v48
	v_fma_f16 v48, v32, s0, v26
	v_fma_f16 v26, v32, s0, -v26
	v_sub_f16_e32 v20, v20, v41
	v_add_f16_e32 v10, v26, v10
	v_add_f16_e32 v21, v21, v44
	v_mul_f16_e32 v26, 0xbbeb, v20
	v_add_f16_e32 v42, v42, v47
	v_fma_f16 v47, v32, s6, v46
	v_fma_f16 v46, v32, s6, -v46
	v_fma_f16 v32, v21, s6, v26
	v_fma_f16 v26, v21, s6, -v26
	v_add_f16_e32 v26, v26, v35
	v_mul_f16_e32 v35, 0x3482, v20
	v_add_f16_e32 v32, v32, v36
	v_fma_f16 v36, v21, s8, v35
	v_fma_f16 v35, v21, s8, -v35
	v_add_f16_e32 v36, v36, v42
	v_add_f16_e32 v35, v35, v40
	v_mul_f16_e32 v40, 0x3b47, v20
	v_mul_f16_e32 v42, 0xb853, v20
	;; [unrolled: 1-line block ×3, first 2 shown]
	v_fma_f16 v44, v21, s7, v20
	v_fma_f16 v20, v21, s7, -v20
	v_sub_f16_e32 v15, v15, v37
	v_fma_f16 v41, v21, s1, v40
	v_fma_f16 v40, v21, s1, -v40
	v_add_f16_e32 v10, v20, v10
	v_add_f16_e32 v16, v16, v39
	v_mul_f16_e32 v20, 0xba0c, v15
	v_add_f16_e32 v40, v40, v43
	v_fma_f16 v43, v21, s0, v42
	v_fma_f16 v42, v21, s0, -v42
	v_fma_f16 v21, v16, s7, v20
	v_fma_f16 v20, v16, s7, -v20
	v_add_f16_e32 v20, v20, v26
	v_mul_f16_e32 v26, 0x3beb, v15
	v_add_f16_e32 v21, v21, v32
	v_fma_f16 v32, v16, s6, v26
	v_fma_f16 v26, v16, s6, -v26
	v_add_f16_e32 v26, v26, v35
	v_mul_f16_e32 v35, 0xb853, v15
	v_add_f16_e32 v32, v32, v36
	v_fma_f16 v36, v16, s0, v35
	v_fma_f16 v35, v16, s0, -v35
	v_mul_f16_e32 v37, 0xb482, v15
	v_mul_f16_e32 v15, 0x3b47, v15
	v_add_f16_e32 v35, v35, v40
	v_fma_f16 v39, v16, s8, v37
	v_fma_f16 v37, v16, s8, -v37
	v_fma_f16 v40, v16, s1, v15
	v_fma_f16 v15, v16, s1, -v15
	v_sub_f16_e32 v16, v18, v27
	v_add_f16_e32 v10, v15, v10
	v_add_f16_e32 v15, v25, v30
	v_mul_f16_e32 v18, 0xb482, v16
	v_fma_f16 v25, v15, s8, v18
	v_fma_f16 v18, v15, s8, -v18
	v_add_f16_e32 v18, v18, v20
	v_mul_f16_e32 v20, 0x3853, v16
	v_add_f16_e32 v21, v25, v21
	v_fma_f16 v25, v15, s0, v20
	v_fma_f16 v20, v15, s0, -v20
	v_add_f16_e32 v20, v20, v26
	v_mul_f16_e32 v26, 0xba0c, v16
	v_fma_f16 v27, v15, s7, v26
	v_fma_f16 v26, v15, s7, -v26
	v_mul_f16_e32 v30, 0x3b47, v16
	v_mul_f16_e32 v16, 0xbbeb, v16
	v_add_f16_e32 v25, v25, v32
	v_add_f16_e32 v26, v26, v35
	v_fma_f16 v32, v15, s1, v30
	v_fma_f16 v30, v15, s1, -v30
	v_fma_f16 v35, v15, s6, v16
	v_fma_f16 v15, v15, s6, -v16
	v_add_f16_e32 v10, v15, v10
	v_mul_u32_u24_e32 v15, 22, v49
	v_add_f16_e32 v45, v45, v50
	v_add_f16_e32 v47, v47, v52
	v_add_f16_e32 v46, v46, v51
	v_add_f16_e32 v48, v48, v53
	v_or_b32_e32 v9, v15, v9
	v_add_f16_e32 v41, v41, v45
	v_add_f16_e32 v43, v43, v47
	;; [unrolled: 1-line block ×4, first 2 shown]
	v_lshlrev_b32_e32 v9, 1, v9
	v_add_f16_e32 v36, v36, v41
	v_add_f16_e32 v39, v39, v43
	;; [unrolled: 1-line block ×4, first 2 shown]
	v_add3_u32 v9, 0, v9, v8
	v_add_f16_e32 v27, v27, v36
	v_add_f16_e32 v32, v32, v39
	;; [unrolled: 1-line block ×4, first 2 shown]
	ds_write_b16 v9, v38
	ds_write_b16 v9, v21 offset:4
	ds_write_b16 v9, v25 offset:8
	;; [unrolled: 1-line block ×10, first 2 shown]
.LBB0_20:
	s_or_b64 exec, exec, s[4:5]
	v_lshrrev_b16_e32 v9, 1, v6
	v_and_b32_e32 v9, 0x7f, v9
	v_mul_lo_u16_e32 v9, 0xbb, v9
	v_lshrrev_b16_e32 v18, 11, v9
	v_mul_lo_u16_e32 v9, 22, v18
	v_sub_u16_e32 v20, v6, v9
	v_mov_b32_e32 v15, 6
	v_mul_u32_u24_sdwa v9, v20, v15 dst_sel:DWORD dst_unused:UNUSED_PAD src0_sel:BYTE_0 src1_sel:DWORD
	v_lshlrev_b32_e32 v16, 2, v9
	s_waitcnt lgkmcnt(0)
	s_barrier
	global_load_dwordx4 v[35:38], v16, s[12:13] offset:80
	global_load_dwordx2 v[9:10], v16, s[12:13] offset:96
	v_lshrrev_b16_e32 v16, 1, v7
	v_and_b32_e32 v16, 0x7f, v16
	v_mul_lo_u16_e32 v16, 0xbb, v16
	v_lshrrev_b16_e32 v21, 11, v16
	v_mul_lo_u16_e32 v16, 22, v21
	v_sub_u16_e32 v25, v7, v16
	v_mul_u32_u24_sdwa v15, v25, v15 dst_sel:DWORD dst_unused:UNUSED_PAD src0_sel:BYTE_0 src1_sel:DWORD
	v_lshlrev_b32_e32 v26, 2, v15
	global_load_dwordx4 v[39:42], v26, s[12:13] offset:80
	global_load_dwordx2 v[15:16], v26, s[12:13] offset:96
	ds_read_u16 v26, v0
	ds_read_u16 v27, v5 offset:1232
	ds_read_u16 v30, v5 offset:1078
	;; [unrolled: 1-line block ×13, first 2 shown]
	s_movk_i32 s14, 0x2b26
	s_movk_i32 s0, 0x3b00
	s_mov_b32 s8, 0xbcab
	s_movk_i32 s1, 0x39e0
	s_mov_b32 s4, 0xb9e0
	s_movk_i32 s9, 0x3574
	s_mov_b32 s5, 0xb574
	s_movk_i32 s6, 0x370e
	s_waitcnt vmcnt(0) lgkmcnt(0)
	s_barrier
	s_movk_i32 s7, 0x3a52
	v_mul_f16_sdwa v53, v46, v35 dst_sel:DWORD dst_unused:UNUSED_PAD src0_sel:DWORD src1_sel:WORD_1
	v_mul_f16_sdwa v54, v34, v35 dst_sel:DWORD dst_unused:UNUSED_PAD src0_sel:DWORD src1_sel:WORD_1
	;; [unrolled: 1-line block ×16, first 2 shown]
	v_fma_f16 v34, v34, v35, -v53
	v_fma_f16 v35, v46, v35, v54
	v_fma_f16 v31, v31, v36, -v55
	v_fma_f16 v36, v44, v36, v56
	;; [unrolled: 2-line block ×8, first 2 shown]
	v_add_f16_e32 v40, v34, v29
	v_add_f16_e32 v41, v35, v10
	v_sub_f16_e32 v29, v34, v29
	v_sub_f16_e32 v10, v35, v10
	v_add_f16_e32 v34, v31, v33
	v_add_f16_e32 v35, v36, v9
	v_mul_f16_sdwa v65, v45, v39 dst_sel:DWORD dst_unused:UNUSED_PAD src0_sel:DWORD src1_sel:WORD_1
	v_mul_f16_sdwa v66, v23, v39 dst_sel:DWORD dst_unused:UNUSED_PAD src0_sel:DWORD src1_sel:WORD_1
	;; [unrolled: 1-line block ×6, first 2 shown]
	v_sub_f16_e32 v31, v31, v33
	v_sub_f16_e32 v9, v36, v9
	v_add_f16_e32 v33, v28, v17
	v_add_f16_e32 v36, v32, v27
	v_sub_f16_e32 v17, v17, v28
	v_sub_f16_e32 v27, v27, v32
	v_add_f16_e32 v28, v34, v40
	v_add_f16_e32 v32, v35, v41
	v_fma_f16 v23, v23, v39, -v65
	v_fma_f16 v37, v45, v39, v66
	v_fma_f16 v24, v24, v42, -v71
	v_fma_f16 v39, v52, v42, v72
	;; [unrolled: 2-line block ×3, first 2 shown]
	v_sub_f16_e32 v42, v34, v40
	v_sub_f16_e32 v43, v35, v41
	;; [unrolled: 1-line block ×6, first 2 shown]
	v_add_f16_e32 v44, v17, v31
	v_add_f16_e32 v45, v27, v9
	v_sub_f16_e32 v46, v17, v31
	v_sub_f16_e32 v48, v27, v9
	;; [unrolled: 1-line block ×4, first 2 shown]
	v_add_f16_e32 v28, v33, v28
	v_add_f16_e32 v32, v36, v32
	v_sub_f16_e32 v17, v29, v17
	v_sub_f16_e32 v27, v10, v27
	v_add_f16_e32 v29, v44, v29
	v_add_f16_e32 v10, v45, v10
	;; [unrolled: 1-line block ×4, first 2 shown]
	v_mul_f16_e32 v33, 0x3a52, v40
	v_mul_f16_e32 v36, 0x3a52, v41
	;; [unrolled: 1-line block ×8, first 2 shown]
	v_mul_f16_sdwa v73, v50, v15 dst_sel:DWORD dst_unused:UNUSED_PAD src0_sel:DWORD src1_sel:WORD_1
	v_mul_f16_sdwa v74, v22, v15 dst_sel:DWORD dst_unused:UNUSED_PAD src0_sel:DWORD src1_sel:WORD_1
	v_fma_f16 v28, v28, s8, v12
	v_fma_f16 v32, v32, s8, v26
	;; [unrolled: 1-line block ×4, first 2 shown]
	v_fma_f16 v40, v42, s1, -v40
	v_fma_f16 v41, v43, s1, -v41
	;; [unrolled: 1-line block ×4, first 2 shown]
	v_fma_f16 v42, v17, s9, v44
	v_fma_f16 v43, v27, s9, v45
	v_fma_f16 v9, v9, s0, -v45
	v_fma_f16 v17, v17, s5, -v46
	;; [unrolled: 1-line block ×4, first 2 shown]
	v_fma_f16 v15, v50, v15, v74
	v_fma_f16 v31, v31, s0, -v44
	v_add_f16_e32 v34, v34, v28
	v_add_f16_e32 v35, v35, v32
	v_add_f16_e32 v40, v40, v28
	v_add_f16_e32 v41, v41, v32
	v_add_f16_e32 v28, v33, v28
	v_add_f16_e32 v32, v36, v32
	v_fma_f16 v33, v29, s6, v42
	v_fma_f16 v36, v10, s6, v43
	;; [unrolled: 1-line block ×6, first 2 shown]
	v_add_f16_e32 v27, v36, v34
	v_sub_f16_e32 v29, v35, v33
	v_add_f16_e32 v42, v10, v28
	v_sub_f16_e32 v43, v32, v17
	v_sub_f16_e32 v10, v28, v10
	v_add_f16_e32 v28, v17, v32
	v_sub_f16_e32 v17, v34, v36
	v_add_f16_e32 v32, v33, v35
	v_add_f16_e32 v33, v23, v14
	;; [unrolled: 1-line block ×3, first 2 shown]
	v_sub_f16_e32 v14, v23, v14
	v_add_f16_e32 v23, v19, v22
	v_add_f16_e32 v35, v38, v15
	v_sub_f16_e32 v16, v37, v16
	v_sub_f16_e32 v19, v19, v22
	;; [unrolled: 1-line block ×3, first 2 shown]
	v_add_f16_e32 v22, v13, v24
	v_add_f16_e32 v36, v30, v39
	v_sub_f16_e32 v13, v24, v13
	v_sub_f16_e32 v24, v39, v30
	v_add_f16_e32 v30, v23, v33
	v_add_f16_e32 v37, v35, v34
	v_sub_f16_e32 v44, v40, v9
	v_add_f16_e32 v45, v31, v41
	v_add_f16_e32 v9, v9, v40
	v_sub_f16_e32 v31, v41, v31
	v_sub_f16_e32 v38, v23, v33
	;; [unrolled: 1-line block ×6, first 2 shown]
	v_add_f16_e32 v40, v13, v19
	v_add_f16_e32 v41, v24, v15
	v_sub_f16_e32 v46, v13, v19
	v_sub_f16_e32 v48, v24, v15
	v_add_f16_e32 v22, v22, v30
	v_add_f16_e32 v30, v36, v37
	v_sub_f16_e32 v34, v34, v36
	v_sub_f16_e32 v13, v14, v13
	;; [unrolled: 1-line block ×5, first 2 shown]
	v_add_f16_e32 v14, v40, v14
	v_add_f16_e32 v16, v41, v16
	;; [unrolled: 1-line block ×4, first 2 shown]
	v_mul_f16_e32 v37, 0x2b26, v23
	v_mul_f16_e32 v40, 0x2b26, v35
	v_mul_f16_e32 v41, 0xb846, v46
	v_mul_f16_e32 v46, 0xb846, v48
	v_mul_f16_e32 v47, 0x3b00, v19
	v_mul_f16_e32 v48, 0x3b00, v15
	v_fma_f16 v22, v22, s8, v11
	v_fma_f16 v30, v30, s8, v36
	v_fma_f16 v37, v38, s1, -v37
	v_fma_f16 v40, v39, s1, -v40
	v_fma_f16 v19, v19, s0, -v41
	v_fma_f16 v15, v15, s0, -v46
	v_mul_f16_e32 v33, 0x3a52, v33
	v_mul_f16_e32 v34, 0x3a52, v34
	v_add_f16_e32 v37, v37, v22
	v_add_f16_e32 v40, v40, v30
	v_fma_f16 v19, v14, s6, v19
	v_fma_f16 v15, v16, s6, v15
	;; [unrolled: 1-line block ×4, first 2 shown]
	v_fma_f16 v33, v38, s4, -v33
	v_fma_f16 v34, v39, s4, -v34
	v_fma_f16 v38, v13, s9, v41
	v_fma_f16 v39, v24, s9, v46
	v_fma_f16 v13, v13, s5, -v47
	v_fma_f16 v24, v24, s5, -v48
	v_sub_f16_e32 v41, v37, v15
	v_add_f16_e32 v46, v19, v40
	v_add_f16_e32 v15, v15, v37
	v_sub_f16_e32 v37, v40, v19
	s_movk_i32 s14, 0x134
	v_mov_b32_e32 v19, 1
	v_add_f16_e32 v23, v23, v22
	v_add_f16_e32 v35, v35, v30
	;; [unrolled: 1-line block ×4, first 2 shown]
	v_fma_f16 v33, v14, s6, v38
	v_fma_f16 v13, v14, s6, v13
	;; [unrolled: 1-line block ×3, first 2 shown]
	v_mad_u32_u24 v18, v18, s14, 0
	v_lshlrev_b32_sdwa v20, v19, v20 dst_sel:DWORD dst_unused:UNUSED_PAD src0_sel:DWORD src1_sel:BYTE_0
	v_fma_f16 v34, v16, s6, v39
	v_add_f16_e32 v38, v14, v22
	v_sub_f16_e32 v39, v30, v13
	v_sub_f16_e32 v14, v22, v14
	v_add_f16_e32 v22, v13, v30
	v_add3_u32 v30, v18, v20, v8
	ds_write_b16 v30, v12
	ds_write_b16 v30, v27 offset:44
	ds_write_b16 v30, v42 offset:88
	;; [unrolled: 1-line block ×6, first 2 shown]
	v_mad_u32_u24 v9, v21, s14, 0
	v_lshlrev_b32_sdwa v10, v19, v25 dst_sel:DWORD dst_unused:UNUSED_PAD src0_sel:DWORD src1_sel:BYTE_0
	v_add_f16_e32 v16, v34, v23
	v_sub_f16_e32 v13, v23, v34
	v_add3_u32 v25, v9, v10, v8
	ds_write_b16 v25, v11
	ds_write_b16 v25, v16 offset:44
	ds_write_b16 v25, v38 offset:88
	;; [unrolled: 1-line block ×6, first 2 shown]
	s_waitcnt lgkmcnt(0)
	s_barrier
	ds_read_u16 v8, v0
	ds_read_u16 v9, v5 offset:1232
	ds_read_u16 v16, v5 offset:1078
	;; [unrolled: 1-line block ×13, first 2 shown]
	v_sub_f16_e32 v24, v35, v33
	v_add_f16_e32 v23, v33, v35
	s_waitcnt lgkmcnt(0)
	s_barrier
	ds_write_b16 v30, v26
	ds_write_b16 v30, v29 offset:44
	ds_write_b16 v30, v43 offset:88
	;; [unrolled: 1-line block ×6, first 2 shown]
	ds_write_b16 v25, v36
	ds_write_b16 v25, v24 offset:44
	ds_write_b16 v25, v39 offset:88
	;; [unrolled: 1-line block ×6, first 2 shown]
	s_waitcnt lgkmcnt(0)
	s_barrier
	s_and_saveexec_b64 s[14:15], vcc
	s_cbranch_execz .LBB0_22
; %bb.21:
	v_mul_u32_u24_e32 v7, 6, v7
	v_lshlrev_b32_e32 v7, 2, v7
	global_load_dwordx4 v[22:25], v7, s[12:13] offset:608
	global_load_dwordx2 v[30:31], v7, s[12:13] offset:624
	v_mul_u32_u24_e32 v26, 6, v6
	v_lshlrev_b32_e32 v47, 2, v26
	ds_read_u16 v35, v5 offset:1078
	ds_read_u16 v36, v5 offset:924
	;; [unrolled: 1-line block ×13, first 2 shown]
	ds_read_u16 v0, v0
	global_load_dwordx4 v[26:29], v47, s[12:13] offset:608
	global_load_dwordx2 v[32:33], v47, s[12:13] offset:624
	v_mul_lo_u32 v7, s3, v3
	v_mul_lo_u32 v34, s2, v4
	v_mad_u64_u32 v[3:4], s[2:3], s2, v3, 0
	v_add3_u32 v4, v4, v34, v7
	v_lshlrev_b64 v[3:4], 2, v[3:4]
	v_add_co_u32_e32 v3, vcc, s10, v3
	s_waitcnt vmcnt(3) lgkmcnt(9)
	v_mul_f16_sdwa v7, v39, v22 dst_sel:DWORD dst_unused:UNUSED_PAD src0_sel:DWORD src1_sel:WORD_1
	s_waitcnt vmcnt(2) lgkmcnt(7)
	v_mul_f16_sdwa v34, v41, v31 dst_sel:DWORD dst_unused:UNUSED_PAD src0_sel:DWORD src1_sel:WORD_1
	s_waitcnt lgkmcnt(3)
	v_mul_f16_sdwa v47, v45, v25 dst_sel:DWORD dst_unused:UNUSED_PAD src0_sel:DWORD src1_sel:WORD_1
	v_mul_f16_sdwa v48, v35, v24 dst_sel:DWORD dst_unused:UNUSED_PAD src0_sel:DWORD src1_sel:WORD_1
	;; [unrolled: 1-line block ×9, first 2 shown]
	v_fma_f16 v7, v18, v22, -v7
	v_fma_f16 v18, v20, v31, -v34
	;; [unrolled: 1-line block ×6, first 2 shown]
	v_mul_f16_sdwa v54, v21, v25 dst_sel:DWORD dst_unused:UNUSED_PAD src0_sel:DWORD src1_sel:WORD_1
	v_fma_f16 v21, v31, v41, v51
	v_fma_f16 v22, v22, v39, v52
	;; [unrolled: 1-line block ×5, first 2 shown]
	v_sub_f16_e32 v34, v20, v16
	v_sub_f16_e32 v35, v17, v19
	v_fma_f16 v25, v25, v45, v54
	v_sub_f16_e32 v31, v7, v18
	v_add_f16_e32 v37, v22, v21
	v_add_f16_e32 v41, v23, v30
	;; [unrolled: 1-line block ×4, first 2 shown]
	v_sub_f16_e32 v18, v22, v21
	v_add_f16_e32 v22, v34, v35
	v_add_f16_e32 v39, v25, v24
	;; [unrolled: 1-line block ×3, first 2 shown]
	v_sub_f16_e32 v19, v25, v24
	v_sub_f16_e32 v20, v31, v34
	v_sub_f16_e32 v21, v34, v35
	v_add_f16_e32 v34, v37, v41
	v_add_f16_e32 v47, v7, v17
	v_add_f16_e32 v22, v31, v22
	v_sub_f16_e32 v23, v23, v30
	v_sub_f16_e32 v31, v35, v31
	;; [unrolled: 1-line block ×7, first 2 shown]
	v_mul_f16_e32 v21, 0xb846, v21
	v_add_f16_e32 v34, v39, v34
	v_add_f16_e32 v16, v16, v47
	v_sub_f16_e32 v30, v19, v23
	v_add_f16_e32 v19, v19, v23
	v_mul_f16_e32 v35, 0x3b00, v31
	v_mul_f16_e32 v49, 0x3a52, v24
	;; [unrolled: 1-line block ×5, first 2 shown]
	v_fma_f16 v47, v20, s9, v21
	s_waitcnt lgkmcnt(1)
	v_add_f16_e32 v50, v5, v34
	v_add_f16_e32 v15, v15, v16
	v_mul_f16_e32 v30, 0xb846, v30
	v_add_f16_e32 v19, v18, v19
	v_fma_f16 v20, v20, s5, -v35
	v_sub_f16_e32 v35, v41, v37
	v_sub_f16_e32 v7, v17, v7
	;; [unrolled: 1-line block ×3, first 2 shown]
	v_fma_f16 v24, v24, s7, v25
	v_fma_f16 v34, v34, s8, v50
	;; [unrolled: 1-line block ×3, first 2 shown]
	v_fma_f16 v37, v35, s4, -v49
	v_fma_f16 v17, v7, s4, -v39
	v_mul_f16_e32 v23, 0x3b00, v18
	v_fma_f16 v25, v35, s1, -v25
	v_fma_f16 v21, v31, s0, -v21
	;; [unrolled: 1-line block ×4, first 2 shown]
	v_fma_f16 v5, v43, s7, v45
	v_fma_f16 v51, v48, s9, v30
	;; [unrolled: 1-line block ×3, first 2 shown]
	v_add_f16_e32 v37, v37, v34
	v_fma_f16 v23, v48, s5, -v23
	v_add_f16_e32 v25, v25, v34
	v_fma_f16 v21, v22, s6, v21
	v_fma_f16 v18, v19, s6, v18
	v_add_f16_e32 v7, v7, v16
	v_fma_f16 v43, v22, s6, v47
	v_add_f16_e32 v5, v5, v16
	;; [unrolled: 2-line block ×3, first 2 shown]
	v_add_f16_e32 v17, v17, v16
	v_fma_f16 v23, v19, s6, v23
	v_sub_f16_e32 v22, v25, v21
	v_add_f16_e32 v16, v18, v7
	v_add_f16_e32 v19, v21, v25
	v_sub_f16_e32 v7, v7, v18
	v_sub_f16_e32 v18, v37, v20
	s_waitcnt vmcnt(1)
	v_mul_f16_sdwa v25, v46, v29 dst_sel:DWORD dst_unused:UNUSED_PAD src0_sel:DWORD src1_sel:WORD_1
	v_mul_f16_sdwa v30, v36, v28 dst_sel:DWORD dst_unused:UNUSED_PAD src0_sel:DWORD src1_sel:WORD_1
	;; [unrolled: 1-line block ×3, first 2 shown]
	s_waitcnt vmcnt(0)
	v_mul_f16_sdwa v37, v44, v32 dst_sel:DWORD dst_unused:UNUSED_PAD src0_sel:DWORD src1_sel:WORD_1
	v_sub_f16_e32 v52, v5, v51
	v_sub_f16_e32 v39, v17, v23
	v_add_f16_e32 v17, v23, v17
	v_add_f16_e32 v21, v51, v5
	v_mul_f16_sdwa v5, v40, v26 dst_sel:DWORD dst_unused:UNUSED_PAD src0_sel:DWORD src1_sel:WORD_1
	v_mul_f16_sdwa v23, v42, v33 dst_sel:DWORD dst_unused:UNUSED_PAD src0_sel:DWORD src1_sel:WORD_1
	v_fma_f16 v25, v9, v29, -v25
	v_fma_f16 v30, v11, v28, -v30
	;; [unrolled: 1-line block ×4, first 2 shown]
	v_mul_f16_sdwa v11, v11, v28 dst_sel:DWORD dst_unused:UNUSED_PAD src0_sel:DWORD src1_sel:WORD_1
	v_mul_f16_sdwa v9, v9, v29 dst_sel:DWORD dst_unused:UNUSED_PAD src0_sel:DWORD src1_sel:WORD_1
	;; [unrolled: 1-line block ×4, first 2 shown]
	v_add_f16_e32 v24, v24, v34
	v_fma_f16 v5, v13, v26, -v5
	v_fma_f16 v23, v14, v33, -v23
	v_mul_f16_sdwa v14, v14, v33 dst_sel:DWORD dst_unused:UNUSED_PAD src0_sel:DWORD src1_sel:WORD_1
	v_mul_f16_sdwa v13, v13, v26 dst_sel:DWORD dst_unused:UNUSED_PAD src0_sel:DWORD src1_sel:WORD_1
	v_fma_f16 v11, v28, v36, v11
	v_fma_f16 v9, v29, v46, v9
	;; [unrolled: 1-line block ×4, first 2 shown]
	v_add_f16_e32 v47, v43, v24
	v_sub_f16_e32 v20, v24, v43
	v_sub_f16_e32 v24, v5, v23
	;; [unrolled: 1-line block ×4, first 2 shown]
	v_fma_f16 v14, v33, v42, v14
	v_fma_f16 v13, v26, v40, v13
	v_add_f16_e32 v28, v9, v11
	v_add_f16_e32 v27, v10, v12
	v_sub_f16_e32 v9, v9, v11
	v_sub_f16_e32 v10, v10, v12
	;; [unrolled: 1-line block ×4, first 2 shown]
	v_add_f16_e32 v31, v31, v43
	v_add_f16_e32 v26, v13, v14
	v_sub_f16_e32 v13, v13, v14
	v_sub_f16_e32 v12, v9, v10
	v_mul_f16_e32 v45, 0xb846, v45
	v_add_f16_e32 v31, v24, v31
	v_sub_f16_e32 v11, v13, v9
	v_mul_f16_e32 v12, 0xb846, v12
	v_add_f16_e32 v9, v9, v10
	v_sub_f16_e32 v24, v43, v24
	v_sub_f16_e32 v10, v10, v13
	v_add_f16_e32 v36, v26, v27
	v_add_f16_e32 v5, v5, v23
	;; [unrolled: 1-line block ×4, first 2 shown]
	v_mul_f16_e32 v40, 0x3b00, v24
	v_mul_f16_e32 v13, 0x3b00, v10
	v_fma_f16 v24, v24, s0, -v45
	v_fma_f16 v10, v10, s0, -v12
	s_mov_b32 s0, 0x3531dec1
	v_sub_f16_e32 v29, v26, v28
	v_sub_f16_e32 v32, v28, v27
	v_add_f16_e32 v28, v28, v36
	v_add_f16_e32 v23, v25, v30
	;; [unrolled: 1-line block ×3, first 2 shown]
	v_fma_f16 v14, v11, s9, v12
	v_mul_hi_u32 v12, v6, s0
	v_mul_f16_e32 v33, 0x3a52, v29
	v_mul_f16_e32 v32, 0x2b26, v32
	s_waitcnt lgkmcnt(0)
	v_add_f16_e32 v36, v0, v28
	v_sub_f16_e32 v25, v5, v23
	v_sub_f16_e32 v37, v23, v35
	v_add_f16_e32 v23, v23, v38
	v_sub_f16_e32 v26, v27, v26
	v_fma_f16 v29, v29, s7, v32
	v_fma_f16 v0, v28, s8, v36
	v_mul_f16_e32 v30, 0x3a52, v25
	v_mul_f16_e32 v37, 0x2b26, v37
	v_add_f16_e32 v8, v8, v23
	v_fma_f16 v27, v26, s4, -v33
	v_sub_f16_e32 v5, v35, v5
	v_fma_f16 v26, v26, s1, -v32
	v_add_f16_e32 v28, v29, v0
	v_fma_f16 v25, v25, s7, v37
	v_fma_f16 v23, v23, s8, v8
	v_add_f16_e32 v27, v27, v0
	v_fma_f16 v30, v5, s4, -v30
	v_add_f16_e32 v0, v26, v0
	v_fma_f16 v24, v31, s6, v24
	v_fma_f16 v5, v5, s1, -v37
	v_add_f16_e32 v25, v25, v23
	v_add_f16_e32 v30, v30, v23
	v_sub_f16_e32 v26, v0, v24
	v_add_f16_e32 v5, v5, v23
	v_add_f16_e32 v23, v24, v0
	v_lshrrev_b32_e32 v0, 5, v12
	s_movk_i32 s1, 0x9a
	v_mul_lo_u32 v0, v0, s1
	v_fma_f16 v48, v34, s9, v45
	v_fma_f16 v14, v9, s6, v14
	v_fma_f16 v34, v34, s5, -v40
	v_sub_u32_e32 v24, v6, v0
	v_mov_b32_e32 v0, s11
	v_addc_co_u32_e32 v4, vcc, v0, v4, vcc
	v_lshlrev_b64 v[0:1], 2, v[1:2]
	v_fma_f16 v11, v11, s5, -v13
	v_sub_f16_e32 v38, v25, v14
	v_fma_f16 v34, v31, s6, v34
	v_fma_f16 v11, v9, s6, v11
	;; [unrolled: 1-line block ×3, first 2 shown]
	v_add_f16_e32 v14, v14, v25
	v_add_co_u32_e32 v25, vcc, v3, v0
	v_add_f16_e32 v33, v34, v27
	v_add_f16_e32 v10, v9, v5
	v_sub_f16_e32 v5, v5, v9
	v_sub_f16_e32 v9, v27, v34
	v_addc_co_u32_e32 v27, vcc, v4, v1, vcc
	v_lshlrev_b32_e32 v0, 2, v24
	v_fma_f16 v48, v31, s6, v48
	v_add_co_u32_e32 v2, vcc, v25, v0
	v_sub_f16_e32 v12, v28, v48
	v_addc_co_u32_e32 v3, vcc, 0, v27, vcc
	v_pack_b32_f16 v0, v8, v36
	v_sub_f16_e32 v13, v30, v11
	v_add_f16_e32 v11, v11, v30
	global_store_dword v[2:3], v0, off
	v_pack_b32_f16 v0, v14, v12
	global_store_dword v[2:3], v0, off offset:616
	v_pack_b32_f16 v0, v11, v9
	global_store_dword v[2:3], v0, off offset:1232
	v_add_u32_e32 v0, 0x4d, v6
	v_mul_hi_u32 v4, v0, s0
	v_pack_b32_f16 v5, v5, v23
	global_store_dword v[2:3], v5, off offset:1848
	v_pack_b32_f16 v5, v10, v26
	v_lshrrev_b32_e32 v4, 5, v4
	v_mul_lo_u32 v6, v4, s1
	v_mov_b32_e32 v1, 0
	global_store_dword v[2:3], v5, off offset:2464
	v_pack_b32_f16 v5, v13, v33
	v_sub_u32_e32 v0, v0, v6
	s_movk_i32 s0, 0x436
	global_store_dword v[2:3], v5, off offset:3080
	v_mad_u64_u32 v[4:5], s[0:1], v4, s0, v[0:1]
	v_add_f16_e32 v29, v48, v28
	v_pack_b32_f16 v0, v38, v29
	v_mov_b32_e32 v5, v1
	global_store_dword v[2:3], v0, off offset:3696
	v_lshlrev_b64 v[2:3], 2, v[4:5]
	v_pack_b32_f16 v0, v15, v50
	v_add_co_u32_e32 v2, vcc, v25, v2
	v_addc_co_u32_e32 v3, vcc, v27, v3, vcc
	global_store_dword v[2:3], v0, off
	v_add_u32_e32 v0, 0x9a, v4
	v_lshlrev_b64 v[2:3], 2, v[0:1]
	v_pack_b32_f16 v0, v21, v20
	v_add_co_u32_e32 v2, vcc, v25, v2
	v_addc_co_u32_e32 v3, vcc, v27, v3, vcc
	global_store_dword v[2:3], v0, off
	v_add_u32_e32 v0, 0x134, v4
	;; [unrolled: 6-line block ×6, first 2 shown]
	v_lshlrev_b64 v[0:1], 2, v[0:1]
	v_pack_b32_f16 v2, v52, v47
	v_add_co_u32_e32 v0, vcc, v25, v0
	v_addc_co_u32_e32 v1, vcc, v27, v1, vcc
	global_store_dword v[0:1], v2, off
.LBB0_22:
	s_endpgm
	.section	.rodata,"a",@progbits
	.p2align	6, 0x0
	.amdhsa_kernel fft_rtc_fwd_len1078_factors_2_11_7_7_wgs_231_tpt_77_halfLds_half_op_CI_CI_unitstride_sbrr_dirReg
		.amdhsa_group_segment_fixed_size 0
		.amdhsa_private_segment_fixed_size 0
		.amdhsa_kernarg_size 104
		.amdhsa_user_sgpr_count 6
		.amdhsa_user_sgpr_private_segment_buffer 1
		.amdhsa_user_sgpr_dispatch_ptr 0
		.amdhsa_user_sgpr_queue_ptr 0
		.amdhsa_user_sgpr_kernarg_segment_ptr 1
		.amdhsa_user_sgpr_dispatch_id 0
		.amdhsa_user_sgpr_flat_scratch_init 0
		.amdhsa_user_sgpr_private_segment_size 0
		.amdhsa_uses_dynamic_stack 0
		.amdhsa_system_sgpr_private_segment_wavefront_offset 0
		.amdhsa_system_sgpr_workgroup_id_x 1
		.amdhsa_system_sgpr_workgroup_id_y 0
		.amdhsa_system_sgpr_workgroup_id_z 0
		.amdhsa_system_sgpr_workgroup_info 0
		.amdhsa_system_vgpr_workitem_id 0
		.amdhsa_next_free_vgpr 79
		.amdhsa_next_free_sgpr 28
		.amdhsa_reserve_vcc 1
		.amdhsa_reserve_flat_scratch 0
		.amdhsa_float_round_mode_32 0
		.amdhsa_float_round_mode_16_64 0
		.amdhsa_float_denorm_mode_32 3
		.amdhsa_float_denorm_mode_16_64 3
		.amdhsa_dx10_clamp 1
		.amdhsa_ieee_mode 1
		.amdhsa_fp16_overflow 0
		.amdhsa_exception_fp_ieee_invalid_op 0
		.amdhsa_exception_fp_denorm_src 0
		.amdhsa_exception_fp_ieee_div_zero 0
		.amdhsa_exception_fp_ieee_overflow 0
		.amdhsa_exception_fp_ieee_underflow 0
		.amdhsa_exception_fp_ieee_inexact 0
		.amdhsa_exception_int_div_zero 0
	.end_amdhsa_kernel
	.text
.Lfunc_end0:
	.size	fft_rtc_fwd_len1078_factors_2_11_7_7_wgs_231_tpt_77_halfLds_half_op_CI_CI_unitstride_sbrr_dirReg, .Lfunc_end0-fft_rtc_fwd_len1078_factors_2_11_7_7_wgs_231_tpt_77_halfLds_half_op_CI_CI_unitstride_sbrr_dirReg
                                        ; -- End function
	.section	.AMDGPU.csdata,"",@progbits
; Kernel info:
; codeLenInByte = 11344
; NumSgprs: 32
; NumVgprs: 79
; ScratchSize: 0
; MemoryBound: 0
; FloatMode: 240
; IeeeMode: 1
; LDSByteSize: 0 bytes/workgroup (compile time only)
; SGPRBlocks: 3
; VGPRBlocks: 19
; NumSGPRsForWavesPerEU: 32
; NumVGPRsForWavesPerEU: 79
; Occupancy: 3
; WaveLimiterHint : 1
; COMPUTE_PGM_RSRC2:SCRATCH_EN: 0
; COMPUTE_PGM_RSRC2:USER_SGPR: 6
; COMPUTE_PGM_RSRC2:TRAP_HANDLER: 0
; COMPUTE_PGM_RSRC2:TGID_X_EN: 1
; COMPUTE_PGM_RSRC2:TGID_Y_EN: 0
; COMPUTE_PGM_RSRC2:TGID_Z_EN: 0
; COMPUTE_PGM_RSRC2:TIDIG_COMP_CNT: 0
	.type	__hip_cuid_8fb7cf030fda8a87,@object ; @__hip_cuid_8fb7cf030fda8a87
	.section	.bss,"aw",@nobits
	.globl	__hip_cuid_8fb7cf030fda8a87
__hip_cuid_8fb7cf030fda8a87:
	.byte	0                               ; 0x0
	.size	__hip_cuid_8fb7cf030fda8a87, 1

	.ident	"AMD clang version 19.0.0git (https://github.com/RadeonOpenCompute/llvm-project roc-6.4.0 25133 c7fe45cf4b819c5991fe208aaa96edf142730f1d)"
	.section	".note.GNU-stack","",@progbits
	.addrsig
	.addrsig_sym __hip_cuid_8fb7cf030fda8a87
	.amdgpu_metadata
---
amdhsa.kernels:
  - .args:
      - .actual_access:  read_only
        .address_space:  global
        .offset:         0
        .size:           8
        .value_kind:     global_buffer
      - .offset:         8
        .size:           8
        .value_kind:     by_value
      - .actual_access:  read_only
        .address_space:  global
        .offset:         16
        .size:           8
        .value_kind:     global_buffer
      - .actual_access:  read_only
        .address_space:  global
        .offset:         24
        .size:           8
        .value_kind:     global_buffer
      - .actual_access:  read_only
        .address_space:  global
        .offset:         32
        .size:           8
        .value_kind:     global_buffer
      - .offset:         40
        .size:           8
        .value_kind:     by_value
      - .actual_access:  read_only
        .address_space:  global
        .offset:         48
        .size:           8
        .value_kind:     global_buffer
      - .actual_access:  read_only
        .address_space:  global
        .offset:         56
        .size:           8
        .value_kind:     global_buffer
      - .offset:         64
        .size:           4
        .value_kind:     by_value
      - .actual_access:  read_only
        .address_space:  global
        .offset:         72
        .size:           8
        .value_kind:     global_buffer
      - .actual_access:  read_only
        .address_space:  global
        .offset:         80
        .size:           8
        .value_kind:     global_buffer
      - .actual_access:  read_only
        .address_space:  global
        .offset:         88
        .size:           8
        .value_kind:     global_buffer
      - .actual_access:  write_only
        .address_space:  global
        .offset:         96
        .size:           8
        .value_kind:     global_buffer
    .group_segment_fixed_size: 0
    .kernarg_segment_align: 8
    .kernarg_segment_size: 104
    .language:       OpenCL C
    .language_version:
      - 2
      - 0
    .max_flat_workgroup_size: 231
    .name:           fft_rtc_fwd_len1078_factors_2_11_7_7_wgs_231_tpt_77_halfLds_half_op_CI_CI_unitstride_sbrr_dirReg
    .private_segment_fixed_size: 0
    .sgpr_count:     32
    .sgpr_spill_count: 0
    .symbol:         fft_rtc_fwd_len1078_factors_2_11_7_7_wgs_231_tpt_77_halfLds_half_op_CI_CI_unitstride_sbrr_dirReg.kd
    .uniform_work_group_size: 1
    .uses_dynamic_stack: false
    .vgpr_count:     79
    .vgpr_spill_count: 0
    .wavefront_size: 64
amdhsa.target:   amdgcn-amd-amdhsa--gfx906
amdhsa.version:
  - 1
  - 2
...

	.end_amdgpu_metadata
